;; amdgpu-corpus repo=ROCm/rocFFT kind=compiled arch=gfx1030 opt=O3
	.text
	.amdgcn_target "amdgcn-amd-amdhsa--gfx1030"
	.amdhsa_code_object_version 6
	.protected	fft_rtc_fwd_len1750_factors_2_5_5_7_5_wgs_175_tpt_175_halfLds_half_ip_CI_unitstride_sbrr_C2R_dirReg ; -- Begin function fft_rtc_fwd_len1750_factors_2_5_5_7_5_wgs_175_tpt_175_halfLds_half_ip_CI_unitstride_sbrr_C2R_dirReg
	.globl	fft_rtc_fwd_len1750_factors_2_5_5_7_5_wgs_175_tpt_175_halfLds_half_ip_CI_unitstride_sbrr_C2R_dirReg
	.p2align	8
	.type	fft_rtc_fwd_len1750_factors_2_5_5_7_5_wgs_175_tpt_175_halfLds_half_ip_CI_unitstride_sbrr_C2R_dirReg,@function
fft_rtc_fwd_len1750_factors_2_5_5_7_5_wgs_175_tpt_175_halfLds_half_ip_CI_unitstride_sbrr_C2R_dirReg: ; @fft_rtc_fwd_len1750_factors_2_5_5_7_5_wgs_175_tpt_175_halfLds_half_ip_CI_unitstride_sbrr_C2R_dirReg
; %bb.0:
	s_clause 0x2
	s_load_dwordx4 s[8:11], s[4:5], 0x0
	s_load_dwordx2 s[2:3], s[4:5], 0x50
	s_load_dwordx2 s[12:13], s[4:5], 0x18
	v_mul_u32_u24_e32 v1, 0x177, v0
	v_mov_b32_e32 v3, 0
	v_add_nc_u32_sdwa v5, s6, v1 dst_sel:DWORD dst_unused:UNUSED_PAD src0_sel:DWORD src1_sel:WORD_1
	v_mov_b32_e32 v1, 0
	v_mov_b32_e32 v6, v3
	v_mov_b32_e32 v2, 0
	s_waitcnt lgkmcnt(0)
	v_cmp_lt_u64_e64 s0, s[10:11], 2
	s_and_b32 vcc_lo, exec_lo, s0
	s_cbranch_vccnz .LBB0_8
; %bb.1:
	s_load_dwordx2 s[0:1], s[4:5], 0x10
	v_mov_b32_e32 v1, 0
	s_add_u32 s6, s12, 8
	v_mov_b32_e32 v2, 0
	s_addc_u32 s7, s13, 0
	s_mov_b64 s[16:17], 1
	s_waitcnt lgkmcnt(0)
	s_add_u32 s14, s0, 8
	s_addc_u32 s15, s1, 0
.LBB0_2:                                ; =>This Inner Loop Header: Depth=1
	s_load_dwordx2 s[18:19], s[14:15], 0x0
                                        ; implicit-def: $vgpr7_vgpr8
	s_mov_b32 s0, exec_lo
	s_waitcnt lgkmcnt(0)
	v_or_b32_e32 v4, s19, v6
	v_cmpx_ne_u64_e32 0, v[3:4]
	s_xor_b32 s1, exec_lo, s0
	s_cbranch_execz .LBB0_4
; %bb.3:                                ;   in Loop: Header=BB0_2 Depth=1
	v_cvt_f32_u32_e32 v4, s18
	v_cvt_f32_u32_e32 v7, s19
	s_sub_u32 s0, 0, s18
	s_subb_u32 s20, 0, s19
	v_fmac_f32_e32 v4, 0x4f800000, v7
	v_rcp_f32_e32 v4, v4
	v_mul_f32_e32 v4, 0x5f7ffffc, v4
	v_mul_f32_e32 v7, 0x2f800000, v4
	v_trunc_f32_e32 v7, v7
	v_fmac_f32_e32 v4, 0xcf800000, v7
	v_cvt_u32_f32_e32 v7, v7
	v_cvt_u32_f32_e32 v4, v4
	v_mul_lo_u32 v8, s0, v7
	v_mul_hi_u32 v9, s0, v4
	v_mul_lo_u32 v10, s20, v4
	v_add_nc_u32_e32 v8, v9, v8
	v_mul_lo_u32 v9, s0, v4
	v_add_nc_u32_e32 v8, v8, v10
	v_mul_hi_u32 v10, v4, v9
	v_mul_lo_u32 v11, v4, v8
	v_mul_hi_u32 v12, v4, v8
	v_mul_hi_u32 v13, v7, v9
	v_mul_lo_u32 v9, v7, v9
	v_mul_hi_u32 v14, v7, v8
	v_mul_lo_u32 v8, v7, v8
	v_add_co_u32 v10, vcc_lo, v10, v11
	v_add_co_ci_u32_e32 v11, vcc_lo, 0, v12, vcc_lo
	v_add_co_u32 v9, vcc_lo, v10, v9
	v_add_co_ci_u32_e32 v9, vcc_lo, v11, v13, vcc_lo
	v_add_co_ci_u32_e32 v10, vcc_lo, 0, v14, vcc_lo
	v_add_co_u32 v8, vcc_lo, v9, v8
	v_add_co_ci_u32_e32 v9, vcc_lo, 0, v10, vcc_lo
	v_add_co_u32 v4, vcc_lo, v4, v8
	v_add_co_ci_u32_e32 v7, vcc_lo, v7, v9, vcc_lo
	v_mul_hi_u32 v8, s0, v4
	v_mul_lo_u32 v10, s20, v4
	v_mul_lo_u32 v9, s0, v7
	v_add_nc_u32_e32 v8, v8, v9
	v_mul_lo_u32 v9, s0, v4
	v_add_nc_u32_e32 v8, v8, v10
	v_mul_hi_u32 v10, v4, v9
	v_mul_lo_u32 v11, v4, v8
	v_mul_hi_u32 v12, v4, v8
	v_mul_hi_u32 v13, v7, v9
	v_mul_lo_u32 v9, v7, v9
	v_mul_hi_u32 v14, v7, v8
	v_mul_lo_u32 v8, v7, v8
	v_add_co_u32 v10, vcc_lo, v10, v11
	v_add_co_ci_u32_e32 v11, vcc_lo, 0, v12, vcc_lo
	v_add_co_u32 v9, vcc_lo, v10, v9
	v_add_co_ci_u32_e32 v9, vcc_lo, v11, v13, vcc_lo
	v_add_co_ci_u32_e32 v10, vcc_lo, 0, v14, vcc_lo
	v_add_co_u32 v8, vcc_lo, v9, v8
	v_add_co_ci_u32_e32 v9, vcc_lo, 0, v10, vcc_lo
	v_add_co_u32 v4, vcc_lo, v4, v8
	v_add_co_ci_u32_e32 v11, vcc_lo, v7, v9, vcc_lo
	v_mul_hi_u32 v13, v5, v4
	v_mad_u64_u32 v[9:10], null, v6, v4, 0
	v_mad_u64_u32 v[7:8], null, v5, v11, 0
	;; [unrolled: 1-line block ×3, first 2 shown]
	v_add_co_u32 v4, vcc_lo, v13, v7
	v_add_co_ci_u32_e32 v7, vcc_lo, 0, v8, vcc_lo
	v_add_co_u32 v4, vcc_lo, v4, v9
	v_add_co_ci_u32_e32 v4, vcc_lo, v7, v10, vcc_lo
	v_add_co_ci_u32_e32 v7, vcc_lo, 0, v12, vcc_lo
	v_add_co_u32 v4, vcc_lo, v4, v11
	v_add_co_ci_u32_e32 v9, vcc_lo, 0, v7, vcc_lo
	v_mul_lo_u32 v10, s19, v4
	v_mad_u64_u32 v[7:8], null, s18, v4, 0
	v_mul_lo_u32 v11, s18, v9
	v_sub_co_u32 v7, vcc_lo, v5, v7
	v_add3_u32 v8, v8, v11, v10
	v_sub_nc_u32_e32 v10, v6, v8
	v_subrev_co_ci_u32_e64 v10, s0, s19, v10, vcc_lo
	v_add_co_u32 v11, s0, v4, 2
	v_add_co_ci_u32_e64 v12, s0, 0, v9, s0
	v_sub_co_u32 v13, s0, v7, s18
	v_sub_co_ci_u32_e32 v8, vcc_lo, v6, v8, vcc_lo
	v_subrev_co_ci_u32_e64 v10, s0, 0, v10, s0
	v_cmp_le_u32_e32 vcc_lo, s18, v13
	v_cmp_eq_u32_e64 s0, s19, v8
	v_cndmask_b32_e64 v13, 0, -1, vcc_lo
	v_cmp_le_u32_e32 vcc_lo, s19, v10
	v_cndmask_b32_e64 v14, 0, -1, vcc_lo
	v_cmp_le_u32_e32 vcc_lo, s18, v7
	;; [unrolled: 2-line block ×3, first 2 shown]
	v_cndmask_b32_e64 v15, 0, -1, vcc_lo
	v_cmp_eq_u32_e32 vcc_lo, s19, v10
	v_cndmask_b32_e64 v7, v15, v7, s0
	v_cndmask_b32_e32 v10, v14, v13, vcc_lo
	v_add_co_u32 v13, vcc_lo, v4, 1
	v_add_co_ci_u32_e32 v14, vcc_lo, 0, v9, vcc_lo
	v_cmp_ne_u32_e32 vcc_lo, 0, v10
	v_cndmask_b32_e32 v8, v14, v12, vcc_lo
	v_cndmask_b32_e32 v10, v13, v11, vcc_lo
	v_cmp_ne_u32_e32 vcc_lo, 0, v7
	v_cndmask_b32_e32 v8, v9, v8, vcc_lo
	v_cndmask_b32_e32 v7, v4, v10, vcc_lo
.LBB0_4:                                ;   in Loop: Header=BB0_2 Depth=1
	s_andn2_saveexec_b32 s0, s1
	s_cbranch_execz .LBB0_6
; %bb.5:                                ;   in Loop: Header=BB0_2 Depth=1
	v_cvt_f32_u32_e32 v4, s18
	s_sub_i32 s1, 0, s18
	v_rcp_iflag_f32_e32 v4, v4
	v_mul_f32_e32 v4, 0x4f7ffffe, v4
	v_cvt_u32_f32_e32 v4, v4
	v_mul_lo_u32 v7, s1, v4
	v_mul_hi_u32 v7, v4, v7
	v_add_nc_u32_e32 v4, v4, v7
	v_mul_hi_u32 v4, v5, v4
	v_mul_lo_u32 v7, v4, s18
	v_add_nc_u32_e32 v8, 1, v4
	v_sub_nc_u32_e32 v7, v5, v7
	v_subrev_nc_u32_e32 v9, s18, v7
	v_cmp_le_u32_e32 vcc_lo, s18, v7
	v_cndmask_b32_e32 v7, v7, v9, vcc_lo
	v_cndmask_b32_e32 v4, v4, v8, vcc_lo
	v_cmp_le_u32_e32 vcc_lo, s18, v7
	v_add_nc_u32_e32 v8, 1, v4
	v_cndmask_b32_e32 v7, v4, v8, vcc_lo
	v_mov_b32_e32 v8, v3
.LBB0_6:                                ;   in Loop: Header=BB0_2 Depth=1
	s_or_b32 exec_lo, exec_lo, s0
	s_load_dwordx2 s[0:1], s[6:7], 0x0
	v_mul_lo_u32 v4, v8, s18
	v_mul_lo_u32 v11, v7, s19
	v_mad_u64_u32 v[9:10], null, v7, s18, 0
	s_add_u32 s16, s16, 1
	s_addc_u32 s17, s17, 0
	s_add_u32 s6, s6, 8
	s_addc_u32 s7, s7, 0
	;; [unrolled: 2-line block ×3, first 2 shown]
	v_add3_u32 v4, v10, v11, v4
	v_sub_co_u32 v5, vcc_lo, v5, v9
	v_sub_co_ci_u32_e32 v4, vcc_lo, v6, v4, vcc_lo
	s_waitcnt lgkmcnt(0)
	v_mul_lo_u32 v6, s1, v5
	v_mul_lo_u32 v4, s0, v4
	v_mad_u64_u32 v[1:2], null, s0, v5, v[1:2]
	v_cmp_ge_u64_e64 s0, s[16:17], s[10:11]
	s_and_b32 vcc_lo, exec_lo, s0
	v_add3_u32 v2, v6, v2, v4
	s_cbranch_vccnz .LBB0_9
; %bb.7:                                ;   in Loop: Header=BB0_2 Depth=1
	v_mov_b32_e32 v5, v7
	v_mov_b32_e32 v6, v8
	s_branch .LBB0_2
.LBB0_8:
	v_mov_b32_e32 v8, v6
	v_mov_b32_e32 v7, v5
.LBB0_9:
	s_lshl_b64 s[0:1], s[10:11], 3
	v_mul_hi_u32 v5, 0x1767dcf, v0
	s_add_u32 s0, s12, s0
	s_addc_u32 s1, s13, s1
	s_load_dwordx2 s[0:1], s[0:1], 0x0
	s_load_dwordx2 s[4:5], s[4:5], 0x20
	s_waitcnt lgkmcnt(0)
	v_mul_lo_u32 v3, s0, v8
	v_mul_lo_u32 v4, s1, v7
	v_mad_u64_u32 v[1:2], null, s0, v7, v[1:2]
	v_cmp_gt_u64_e32 vcc_lo, s[4:5], v[7:8]
	v_add3_u32 v2, v4, v2, v3
	v_mul_u32_u24_e32 v4, 0xaf, v5
	v_lshlrev_b64 v[2:3], 2, v[1:2]
	v_sub_nc_u32_e32 v0, v0, v4
	s_and_saveexec_b32 s1, vcc_lo
	s_cbranch_execz .LBB0_13
; %bb.10:
	v_mov_b32_e32 v1, 0
	v_add_co_u32 v4, s0, s2, v2
	v_add_co_ci_u32_e64 v5, s0, s3, v3, s0
	v_lshlrev_b64 v[6:7], 2, v[0:1]
	s_mov_b32 s4, exec_lo
	v_add_co_u32 v6, s0, v4, v6
	v_add_co_ci_u32_e64 v7, s0, v5, v7, s0
	v_add_co_u32 v8, s0, 0x800, v6
	v_add_co_ci_u32_e64 v9, s0, 0, v7, s0
	;; [unrolled: 2-line block ×4, first 2 shown]
	s_clause 0x9
	global_load_dword v14, v[6:7], off
	global_load_dword v15, v[6:7], off offset:700
	global_load_dword v6, v[6:7], off offset:1400
	;; [unrolled: 1-line block ×9, first 2 shown]
	v_lshl_add_u32 v12, v0, 2, 0
	v_add_nc_u32_e32 v13, 0x500, v12
	v_add_nc_u32_e32 v18, 0xa00, v12
	;; [unrolled: 1-line block ×4, first 2 shown]
	s_waitcnt vmcnt(8)
	ds_write2_b32 v12, v14, v15 offset1:175
	s_waitcnt vmcnt(6)
	ds_write2_b32 v13, v6, v7 offset0:30 offset1:205
	s_waitcnt vmcnt(4)
	ds_write2_b32 v18, v16, v8 offset0:60 offset1:235
	;; [unrolled: 2-line block ×4, first 2 shown]
	v_cmpx_eq_u32_e32 0xae, v0
	s_cbranch_execz .LBB0_12
; %bb.11:
	v_add_co_u32 v4, s0, 0x1800, v4
	v_add_co_ci_u32_e64 v5, s0, 0, v5, s0
	v_mov_b32_e32 v0, 0xae
	global_load_dword v4, v[4:5], off offset:856
	s_waitcnt vmcnt(0)
	ds_write_b32 v1, v4 offset:7000
.LBB0_12:
	s_or_b32 exec_lo, exec_lo, s4
.LBB0_13:
	s_or_b32 exec_lo, exec_lo, s1
	v_lshlrev_b32_e32 v4, 2, v0
	s_waitcnt lgkmcnt(0)
	s_barrier
	buffer_gl0_inv
	s_add_u32 s1, s8, 0x1b50
	v_add_nc_u32_e32 v17, 0, v4
	v_sub_nc_u32_e32 v11, 0, v4
	s_addc_u32 s4, s9, 0
	s_mov_b32 s5, exec_lo
                                        ; implicit-def: $vgpr5_vgpr6
	ds_read_u16 v9, v17
	ds_read_u16 v10, v11 offset:7000
	s_waitcnt lgkmcnt(0)
	v_add_f16_e32 v8, v10, v9
	v_sub_f16_e32 v7, v9, v10
	v_cmpx_ne_u32_e32 0, v0
	s_xor_b32 s5, exec_lo, s5
	s_cbranch_execz .LBB0_15
; %bb.14:
	v_mov_b32_e32 v1, 0
	v_add_f16_e32 v8, v10, v9
	v_sub_f16_e32 v9, v9, v10
	v_lshlrev_b64 v[5:6], 2, v[0:1]
	v_add_co_u32 v5, s0, s1, v5
	v_add_co_ci_u32_e64 v6, s0, s4, v6, s0
	global_load_dword v5, v[5:6], off
	ds_read_u16 v6, v11 offset:7002
	ds_read_u16 v7, v17 offset:2
	s_waitcnt lgkmcnt(0)
	v_add_f16_e32 v10, v6, v7
	v_sub_f16_e32 v6, v7, v6
	s_waitcnt vmcnt(0)
	v_lshrrev_b32_e32 v12, 16, v5
	v_fma_f16 v13, -v9, v12, v8
	v_fma_f16 v14, v10, v12, -v6
	v_fma_f16 v7, v10, v12, v6
	v_fma_f16 v8, v9, v12, v8
	v_fmac_f16_e32 v13, v5, v10
	v_fmac_f16_e32 v14, v9, v5
	;; [unrolled: 1-line block ×3, first 2 shown]
	v_fma_f16 v8, -v5, v10, v8
	v_mov_b32_e32 v6, v1
	v_mov_b32_e32 v5, v0
	v_pack_b32_f16 v9, v13, v14
	ds_write_b32 v11, v9 offset:7000
.LBB0_15:
	s_andn2_saveexec_b32 s0, s5
	s_cbranch_execz .LBB0_17
; %bb.16:
	v_mov_b32_e32 v1, 0
	ds_read_b32 v5, v1 offset:3500
	s_waitcnt lgkmcnt(0)
	v_pk_mul_f16 v9, 0xc0004000, v5
	v_mov_b32_e32 v5, 0
	v_mov_b32_e32 v6, 0
	ds_write_b32 v1, v9 offset:3500
.LBB0_17:
	s_or_b32 exec_lo, exec_lo, s0
	v_lshlrev_b64 v[5:6], 2, v[5:6]
	v_and_b32_e32 v29, 1, v0
	v_lshl_add_u32 v20, v0, 3, 0
	v_add_nc_u32_e32 v21, v17, v4
	v_mov_b32_e32 v36, 4
	v_lshlrev_b32_e32 v25, 4, v29
	v_add_co_u32 v5, s0, s1, v5
	v_add_co_ci_u32_e64 v6, s0, s4, v6, s0
	v_add_nc_u32_e32 v23, 0xaf0, v20
	v_add_nc_u32_e32 v24, 0x1068, v21
	s_clause 0x1
	global_load_dword v1, v[5:6], off offset:700
	global_load_dword v9, v[5:6], off offset:1400
	v_add_co_u32 v5, s0, 0x800, v5
	v_add_co_ci_u32_e64 v6, s0, 0, v6, s0
	v_add_nc_u32_e32 v20, 0x15e0, v20
	s_clause 0x1
	global_load_dword v10, v[5:6], off offset:52
	global_load_dword v5, v[5:6], off offset:752
	v_perm_b32 v6, v7, v8, 0x5040100
	v_cmp_gt_u32_e64 s0, 0x4b, v0
	ds_write_b32 v17, v6
	ds_read_b32 v6, v17 offset:700
	ds_read_b32 v7, v11 offset:6300
	s_waitcnt lgkmcnt(0)
	v_add_f16_e32 v8, v6, v7
	v_add_f16_sdwa v12, v7, v6 dst_sel:DWORD dst_unused:UNUSED_PAD src0_sel:WORD_1 src1_sel:WORD_1
	v_sub_f16_e32 v13, v6, v7
	v_sub_f16_sdwa v6, v6, v7 dst_sel:DWORD dst_unused:UNUSED_PAD src0_sel:WORD_1 src1_sel:WORD_1
	s_waitcnt vmcnt(3)
	v_lshrrev_b32_e32 v14, 16, v1
	v_fma_f16 v7, v13, v14, v8
	v_fma_f16 v15, v12, v14, v6
	v_fma_f16 v8, -v13, v14, v8
	v_fma_f16 v6, v12, v14, -v6
	v_fma_f16 v7, -v1, v12, v7
	v_fmac_f16_e32 v15, v13, v1
	v_fmac_f16_e32 v8, v1, v12
	;; [unrolled: 1-line block ×3, first 2 shown]
	v_pack_b32_f16 v1, v7, v15
	s_waitcnt vmcnt(2)
	v_lshrrev_b32_e32 v7, 16, v9
	v_pack_b32_f16 v6, v8, v6
	ds_write_b32 v17, v1 offset:700
	ds_write_b32 v11, v6 offset:6300
	ds_read_b32 v1, v17 offset:1400
	ds_read_b32 v6, v11 offset:5600
	s_waitcnt lgkmcnt(0)
	v_add_f16_e32 v8, v1, v6
	v_add_f16_sdwa v12, v6, v1 dst_sel:DWORD dst_unused:UNUSED_PAD src0_sel:WORD_1 src1_sel:WORD_1
	v_sub_f16_e32 v13, v1, v6
	v_sub_f16_sdwa v1, v1, v6 dst_sel:DWORD dst_unused:UNUSED_PAD src0_sel:WORD_1 src1_sel:WORD_1
	v_fma_f16 v6, v13, v7, v8
	v_fma_f16 v14, v12, v7, v1
	v_fma_f16 v8, -v13, v7, v8
	v_fma_f16 v1, v12, v7, -v1
	s_waitcnt vmcnt(1)
	v_lshrrev_b32_e32 v7, 16, v10
	v_fma_f16 v6, -v9, v12, v6
	v_fmac_f16_e32 v14, v13, v9
	v_fmac_f16_e32 v8, v9, v12
	v_fmac_f16_e32 v1, v13, v9
	v_pack_b32_f16 v6, v6, v14
	v_pack_b32_f16 v1, v8, v1
	ds_write_b32 v17, v6 offset:1400
	ds_write_b32 v11, v1 offset:5600
	ds_read_b32 v1, v17 offset:2100
	ds_read_b32 v6, v11 offset:4900
	s_waitcnt lgkmcnt(0)
	v_add_f16_e32 v8, v1, v6
	v_add_f16_sdwa v9, v6, v1 dst_sel:DWORD dst_unused:UNUSED_PAD src0_sel:WORD_1 src1_sel:WORD_1
	v_sub_f16_e32 v12, v1, v6
	v_sub_f16_sdwa v1, v1, v6 dst_sel:DWORD dst_unused:UNUSED_PAD src0_sel:WORD_1 src1_sel:WORD_1
	v_fma_f16 v6, v12, v7, v8
	v_fma_f16 v13, v9, v7, v1
	v_fma_f16 v8, -v12, v7, v8
	v_fma_f16 v1, v9, v7, -v1
	s_waitcnt vmcnt(0)
	v_lshrrev_b32_e32 v7, 16, v5
	v_fma_f16 v6, -v10, v9, v6
	v_fmac_f16_e32 v13, v12, v10
	v_fmac_f16_e32 v8, v10, v9
	;; [unrolled: 1-line block ×3, first 2 shown]
	v_pack_b32_f16 v6, v6, v13
	v_pack_b32_f16 v1, v8, v1
	ds_write_b32 v17, v6 offset:2100
	ds_write_b32 v11, v1 offset:4900
	ds_read_b32 v1, v17 offset:2800
	ds_read_b32 v6, v11 offset:4200
	s_waitcnt lgkmcnt(0)
	v_add_f16_e32 v8, v1, v6
	v_add_f16_sdwa v9, v6, v1 dst_sel:DWORD dst_unused:UNUSED_PAD src0_sel:WORD_1 src1_sel:WORD_1
	v_sub_f16_e32 v10, v1, v6
	v_sub_f16_sdwa v1, v1, v6 dst_sel:DWORD dst_unused:UNUSED_PAD src0_sel:WORD_1 src1_sel:WORD_1
	v_fma_f16 v6, v10, v7, v8
	v_fma_f16 v12, v9, v7, v1
	v_fma_f16 v8, -v10, v7, v8
	v_fma_f16 v1, v9, v7, -v1
	v_add_nc_u32_e32 v7, 0xa00, v17
	v_fma_f16 v6, -v5, v9, v6
	v_fmac_f16_e32 v12, v10, v5
	v_fmac_f16_e32 v8, v5, v9
	;; [unrolled: 1-line block ×3, first 2 shown]
	v_add_nc_u32_e32 v9, 0x500, v17
	v_add_nc_u32_e32 v10, 0x1500, v17
	v_pack_b32_f16 v5, v6, v12
	v_pack_b32_f16 v1, v8, v1
	v_add_nc_u32_e32 v8, 0x1000, v17
	ds_write_b32 v17, v5 offset:2800
	ds_write_b32 v11, v1 offset:4200
	s_waitcnt lgkmcnt(0)
	s_barrier
	buffer_gl0_inv
	s_barrier
	buffer_gl0_inv
	ds_read2_b32 v[5:6], v17 offset1:175
	ds_read2_b32 v[11:12], v7 offset0:60 offset1:235
	ds_read2_b32 v[13:14], v8 offset0:26 offset1:201
	;; [unrolled: 1-line block ×4, first 2 shown]
	v_add_nc_u32_e32 v1, 0xaf, v0
	s_waitcnt lgkmcnt(0)
	s_barrier
	buffer_gl0_inv
	v_and_b32_e32 v30, 1, v1
	v_lshl_add_u32 v22, v1, 3, 0
	v_pk_add_f16 v12, v5, v12 neg_lo:[0,1] neg_hi:[0,1]
	v_pk_add_f16 v13, v6, v13 neg_lo:[0,1] neg_hi:[0,1]
	;; [unrolled: 1-line block ×5, first 2 shown]
	v_pk_fma_f16 v5, v5, 2.0, v12 op_sel_hi:[1,0,1] neg_lo:[0,0,1] neg_hi:[0,0,1]
	v_pk_fma_f16 v6, v6, 2.0, v13 op_sel_hi:[1,0,1] neg_lo:[0,0,1] neg_hi:[0,0,1]
	;; [unrolled: 1-line block ×5, first 2 shown]
	ds_write2_b32 v21, v5, v12 offset1:1
	ds_write2_b32 v22, v6, v13 offset1:1
	ds_write2_b32 v23, v15, v14 offset1:1
	ds_write2_b32 v24, v16, v18 offset1:1
	ds_write2_b32 v20, v11, v19 offset1:1
	s_waitcnt lgkmcnt(0)
	s_barrier
	buffer_gl0_inv
	global_load_dwordx4 v[11:14], v25, s[8:9]
	v_lshlrev_b32_e32 v5, 4, v30
	v_and_b32_e32 v18, 0xff, v0
	v_lshrrev_b32_e32 v6, 1, v0
	v_lshrrev_b32_e32 v15, 1, v1
	global_load_dwordx4 v[19:22], v5, s[8:9]
	v_mov_b32_e32 v5, 0xcccd
	v_mul_lo_u16 v16, 0xcd, v18
	v_mul_u32_u24_e32 v31, 10, v6
	v_mul_u32_u24_e32 v32, 10, v15
	v_mul_u32_u24_sdwa v23, v1, v5 dst_sel:DWORD dst_unused:UNUSED_PAD src0_sel:WORD_0 src1_sel:DWORD
	v_lshrrev_b16 v33, 11, v16
	ds_read2_b32 v[5:6], v17 offset1:175
	v_or_b32_e32 v29, v31, v29
	v_or_b32_e32 v30, v32, v30
	v_lshrrev_b32_e32 v34, 19, v23
	ds_read2_b32 v[15:16], v7 offset0:60 offset1:235
	ds_read2_b32 v[23:24], v8 offset0:26 offset1:201
	;; [unrolled: 1-line block ×4, first 2 shown]
	v_mul_lo_u16 v35, v33, 10
	v_lshl_add_u32 v29, v29, 2, 0
	v_lshl_add_u32 v30, v30, 2, 0
	v_mul_lo_u16 v31, v34, 10
	s_waitcnt vmcnt(0) lgkmcnt(0)
	v_sub_nc_u16 v32, v0, v35
	s_barrier
	buffer_gl0_inv
	v_sub_nc_u16 v31, v1, v31
	v_lshlrev_b32_sdwa v35, v36, v32 dst_sel:DWORD dst_unused:UNUSED_PAD src0_sel:DWORD src1_sel:BYTE_0
	v_lshrrev_b32_e32 v37, 16, v5
	v_lshrrev_b32_e32 v43, 16, v15
	;; [unrolled: 1-line block ×10, first 2 shown]
	v_mul_f16_sdwa v47, v11, v42 dst_sel:DWORD dst_unused:UNUSED_PAD src0_sel:WORD_1 src1_sel:DWORD
	v_mul_f16_sdwa v48, v11, v27 dst_sel:DWORD dst_unused:UNUSED_PAD src0_sel:WORD_1 src1_sel:DWORD
	;; [unrolled: 1-line block ×10, first 2 shown]
	v_mul_f16_sdwa v57, v39, v20 dst_sel:DWORD dst_unused:UNUSED_PAD src0_sel:DWORD src1_sel:WORD_1
	v_mul_f16_sdwa v58, v16, v20 dst_sel:DWORD dst_unused:UNUSED_PAD src0_sel:DWORD src1_sel:WORD_1
	;; [unrolled: 1-line block ×3, first 2 shown]
	v_fmac_f16_e32 v48, v11, v42
	v_fmac_f16_e32 v50, v12, v43
	v_mul_f16_sdwa v43, v41, v22 dst_sel:DWORD dst_unused:UNUSED_PAD src0_sel:DWORD src1_sel:WORD_1
	v_fmac_f16_e32 v52, v13, v44
	v_fma_f16 v11, v11, v27, -v47
	v_fma_f16 v12, v12, v15, -v49
	v_fma_f16 v13, v13, v23, -v51
	v_fma_f16 v15, v14, v25, -v53
	v_mul_f16_sdwa v42, v24, v21 dst_sel:DWORD dst_unused:UNUSED_PAD src0_sel:DWORD src1_sel:WORD_1
	v_mul_f16_sdwa v44, v26, v22 dst_sel:DWORD dst_unused:UNUSED_PAD src0_sel:DWORD src1_sel:WORD_1
	v_fmac_f16_e32 v54, v14, v45
	v_fma_f16 v14, v19, v28, -v55
	v_fmac_f16_e32 v56, v19, v46
	v_fma_f16 v16, v16, v20, -v57
	;; [unrolled: 2-line block ×3, first 2 shown]
	v_fma_f16 v20, v26, v22, -v43
	v_sub_f16_e32 v25, v11, v12
	v_sub_f16_e32 v26, v15, v13
	v_fmac_f16_e32 v42, v40, v21
	v_add_f16_e32 v21, v5, v11
	v_sub_f16_e32 v28, v12, v11
	v_sub_f16_e32 v39, v13, v15
	v_add_f16_e32 v40, v37, v48
	v_fmac_f16_e32 v44, v41, v22
	v_add_f16_e32 v41, v50, v52
	v_sub_f16_e32 v45, v48, v50
	v_sub_f16_e32 v46, v54, v52
	v_add_f16_e32 v47, v48, v54
	v_add_f16_e32 v53, v16, v19
	;; [unrolled: 1-line block ×5, first 2 shown]
	v_sub_f16_e32 v23, v48, v54
	v_sub_f16_e32 v43, v12, v13
	;; [unrolled: 1-line block ×4, first 2 shown]
	v_add_f16_e32 v51, v6, v14
	v_sub_f16_e32 v59, v14, v16
	v_add_f16_e32 v12, v21, v12
	v_sub_f16_e32 v21, v20, v19
	v_sub_f16_e32 v24, v50, v52
	v_add_f16_e32 v27, v11, v15
	v_add_f16_e32 v28, v28, v39
	v_sub_f16_e32 v39, v16, v14
	v_add_f16_e32 v40, v40, v50
	v_sub_f16_e32 v50, v19, v20
	v_add_f16_e32 v45, v45, v46
	v_add_f16_e32 v46, v38, v56
	v_fma_f16 v41, -0.5, v41, v37
	v_fmac_f16_e32 v37, -0.5, v47
	v_add_f16_e32 v47, v58, v42
	v_fma_f16 v53, -0.5, v53, v6
	v_fmac_f16_e32 v6, -0.5, v26
	v_add_f16_e32 v26, v56, v44
	v_sub_f16_e32 v11, v11, v15
	v_add_f16_e32 v48, v48, v49
	v_sub_f16_e32 v49, v16, v19
	;; [unrolled: 2-line block ×4, first 2 shown]
	v_fma_f16 v22, -0.5, v22, v5
	v_sub_f16_e32 v55, v56, v44
	v_sub_f16_e32 v56, v58, v56
	v_add_f16_e32 v39, v39, v50
	v_sub_f16_e32 v50, v42, v44
	v_fma_f16 v5, -0.5, v27, v5
	v_sub_f16_e32 v14, v14, v20
	v_add_f16_e32 v27, v46, v58
	v_fma_f16 v46, -0.5, v47, v38
	v_sub_f16_e32 v57, v58, v42
	v_fmac_f16_e32 v38, -0.5, v26
	v_add_f16_e32 v47, v51, v59
	v_add_f16_e32 v12, v12, v13
	v_fmamk_f16 v13, v23, 0x3b9c, v22
	v_fmamk_f16 v51, v11, 0xbb9c, v41
	v_add_f16_e32 v26, v56, v50
	v_fmamk_f16 v50, v24, 0xbb9c, v5
	v_fmac_f16_e32 v5, 0x3b9c, v24
	v_add_f16_e32 v40, v40, v52
	v_fmamk_f16 v52, v43, 0x3b9c, v37
	v_fmac_f16_e32 v37, 0xbb9c, v43
	v_fmac_f16_e32 v22, 0xbb9c, v23
	;; [unrolled: 1-line block ×3, first 2 shown]
	v_add_f16_e32 v16, v16, v19
	v_fmamk_f16 v19, v55, 0x3b9c, v53
	v_add_f16_e32 v27, v27, v42
	v_fmamk_f16 v42, v14, 0xbb9c, v46
	v_fmamk_f16 v56, v57, 0xbb9c, v6
	v_fmac_f16_e32 v6, 0x3b9c, v57
	v_fmamk_f16 v58, v49, 0x3b9c, v38
	v_fmac_f16_e32 v38, 0xbb9c, v49
	v_fmac_f16_e32 v53, 0xbb9c, v55
	;; [unrolled: 1-line block ×17, first 2 shown]
	v_add_f16_e32 v12, v12, v15
	v_add_f16_e32 v15, v40, v54
	v_fmac_f16_e32 v53, 0xb8b4, v57
	v_fmac_f16_e32 v46, 0x38b4, v49
	;; [unrolled: 1-line block ×10, first 2 shown]
	v_add_f16_e32 v11, v16, v20
	v_add_f16_e32 v16, v27, v44
	v_fmac_f16_e32 v19, 0x34f2, v21
	v_fmac_f16_e32 v42, 0x34f2, v47
	;; [unrolled: 1-line block ×8, first 2 shown]
	v_pack_b32_f16 v12, v12, v15
	v_pack_b32_f16 v13, v13, v51
	;; [unrolled: 1-line block ×10, first 2 shown]
	ds_write2_b32 v29, v12, v13 offset1:2
	ds_write2_b32 v29, v14, v5 offset0:4 offset1:6
	ds_write_b32 v29, v15 offset:32
	ds_write2_b32 v30, v11, v16 offset1:2
	ds_write2_b32 v30, v19, v6 offset0:4 offset1:6
	ds_write_b32 v30, v20 offset:32
	v_lshlrev_b32_sdwa v5, v36, v31 dst_sel:DWORD dst_unused:UNUSED_PAD src0_sel:DWORD src1_sel:WORD_0
	s_waitcnt lgkmcnt(0)
	s_barrier
	buffer_gl0_inv
	s_clause 0x1
	global_load_dwordx4 v[11:14], v35, s[8:9] offset:32
	global_load_dwordx4 v[21:24], v5, s[8:9] offset:32
	ds_read2_b32 v[5:6], v17 offset1:175
	ds_read2_b32 v[15:16], v7 offset0:60 offset1:235
	ds_read2_b32 v[7:8], v8 offset0:26 offset1:201
	;; [unrolled: 1-line block ×4, first 2 shown]
	v_mov_b32_e32 v20, 2
	v_mov_b32_e32 v19, 0xc8
	v_mul_u32_u24_e32 v27, 0xc8, v34
	v_add_nc_u32_e32 v30, 0x7c0, v17
	s_waitcnt vmcnt(0) lgkmcnt(0)
	v_lshlrev_b32_sdwa v28, v20, v32 dst_sel:DWORD dst_unused:UNUSED_PAD src0_sel:DWORD src1_sel:BYTE_0
	v_mul_u32_u24_sdwa v19, v33, v19 dst_sel:DWORD dst_unused:UNUSED_PAD src0_sel:WORD_0 src1_sel:DWORD
	v_lshlrev_b32_sdwa v29, v20, v31 dst_sel:DWORD dst_unused:UNUSED_PAD src0_sel:DWORD src1_sel:WORD_0
	v_add_nc_u32_e32 v31, 0xfa0, v17
	s_barrier
	buffer_gl0_inv
	v_add3_u32 v28, 0, v19, v28
	v_add3_u32 v27, 0, v27, v29
	v_lshrrev_b32_e32 v36, 16, v15
	v_lshrrev_b32_e32 v37, 16, v7
	v_lshrrev_b32_e32 v38, 16, v25
	v_lshrrev_b32_e32 v35, 16, v9
	v_lshrrev_b32_e32 v32, 16, v16
	v_lshrrev_b32_e32 v33, 16, v8
	v_lshrrev_b32_e32 v39, 16, v10
	v_lshrrev_b32_e32 v34, 16, v26
	v_lshrrev_b32_e32 v29, 16, v5
	v_lshrrev_b32_e32 v19, 16, v6
	v_mul_f16_sdwa v40, v11, v35 dst_sel:DWORD dst_unused:UNUSED_PAD src0_sel:WORD_1 src1_sel:DWORD
	v_mul_f16_sdwa v41, v11, v9 dst_sel:DWORD dst_unused:UNUSED_PAD src0_sel:WORD_1 src1_sel:DWORD
	;; [unrolled: 1-line block ×9, first 2 shown]
	v_mul_f16_sdwa v50, v32, v22 dst_sel:DWORD dst_unused:UNUSED_PAD src0_sel:DWORD src1_sel:WORD_1
	v_mul_f16_sdwa v51, v16, v22 dst_sel:DWORD dst_unused:UNUSED_PAD src0_sel:DWORD src1_sel:WORD_1
	;; [unrolled: 1-line block ×4, first 2 shown]
	v_mul_f16_sdwa v49, v21, v10 dst_sel:DWORD dst_unused:UNUSED_PAD src0_sel:WORD_1 src1_sel:DWORD
	v_mul_f16_sdwa v54, v34, v24 dst_sel:DWORD dst_unused:UNUSED_PAD src0_sel:DWORD src1_sel:WORD_1
	v_mul_f16_sdwa v55, v26, v24 dst_sel:DWORD dst_unused:UNUSED_PAD src0_sel:DWORD src1_sel:WORD_1
	v_fma_f16 v9, v11, v9, -v40
	v_fmac_f16_e32 v41, v11, v35
	v_fma_f16 v11, v12, v15, -v42
	v_fmac_f16_e32 v43, v12, v36
	;; [unrolled: 2-line block ×4, first 2 shown]
	v_fma_f16 v7, v21, v10, -v48
	v_fma_f16 v10, v16, v22, -v50
	v_fmac_f16_e32 v51, v32, v22
	v_fma_f16 v8, v8, v23, -v52
	v_fmac_f16_e32 v53, v33, v23
	v_fmac_f16_e32 v49, v21, v39
	v_fma_f16 v14, v26, v24, -v54
	v_fmac_f16_e32 v55, v34, v24
	v_sub_f16_e32 v26, v11, v9
	v_sub_f16_e32 v32, v12, v13
	v_add_f16_e32 v15, v5, v9
	v_add_f16_e32 v16, v11, v12
	;; [unrolled: 1-line block ×5, first 2 shown]
	v_sub_f16_e32 v21, v9, v11
	v_sub_f16_e32 v22, v13, v12
	v_add_f16_e32 v33, v29, v41
	v_add_f16_e32 v42, v10, v8
	v_add_f16_e32 v58, v51, v53
	v_sub_f16_e32 v23, v41, v47
	v_sub_f16_e32 v36, v41, v43
	;; [unrolled: 1-line block ×3, first 2 shown]
	v_add_f16_e32 v41, v6, v7
	v_add_f16_e32 v52, v7, v14
	;; [unrolled: 1-line block ×4, first 2 shown]
	v_sub_f16_e32 v9, v9, v13
	v_sub_f16_e32 v35, v11, v12
	;; [unrolled: 1-line block ×4, first 2 shown]
	v_add_f16_e32 v57, v19, v49
	v_add_f16_e32 v11, v15, v11
	v_fma_f16 v16, -0.5, v16, v5
	v_fma_f16 v34, -0.5, v34, v29
	v_sub_f16_e32 v24, v43, v45
	v_fma_f16 v25, -0.5, v25, v5
	v_fmac_f16_e32 v29, -0.5, v38
	v_sub_f16_e32 v44, v49, v55
	v_sub_f16_e32 v48, v7, v10
	;; [unrolled: 1-line block ×5, first 2 shown]
	v_add_f16_e32 v61, v21, v22
	v_sub_f16_e32 v49, v51, v49
	v_add_f16_e32 v33, v33, v43
	v_sub_f16_e32 v43, v53, v55
	v_fma_f16 v7, -0.5, v42, v6
	v_fma_f16 v22, -0.5, v58, v19
	v_sub_f16_e32 v46, v51, v53
	v_sub_f16_e32 v60, v10, v8
	;; [unrolled: 1-line block ×3, first 2 shown]
	v_add_f16_e32 v5, v41, v10
	v_fmac_f16_e32 v6, -0.5, v52
	v_fmac_f16_e32 v19, -0.5, v32
	v_add_f16_e32 v36, v36, v37
	v_add_f16_e32 v37, v39, v40
	;; [unrolled: 1-line block ×4, first 2 shown]
	v_fmamk_f16 v12, v23, 0x3b9c, v16
	v_fmamk_f16 v41, v9, 0xbb9c, v34
	;; [unrolled: 1-line block ×3, first 2 shown]
	v_fmac_f16_e32 v25, 0x3b9c, v24
	v_fmamk_f16 v42, v35, 0x3b9c, v29
	v_fmac_f16_e32 v29, 0xbb9c, v35
	v_fmac_f16_e32 v16, 0xbb9c, v23
	;; [unrolled: 1-line block ×3, first 2 shown]
	v_sub_f16_e32 v50, v14, v8
	v_add_f16_e32 v32, v49, v43
	v_add_f16_e32 v33, v33, v45
	v_fmamk_f16 v43, v44, 0x3b9c, v7
	v_fmamk_f16 v45, v59, 0xbb9c, v22
	v_sub_f16_e32 v56, v8, v14
	v_add_f16_e32 v15, v15, v21
	v_add_f16_e32 v8, v5, v8
	v_fmamk_f16 v5, v46, 0xbb9c, v6
	v_fmac_f16_e32 v6, 0x3b9c, v46
	v_fmamk_f16 v21, v60, 0x3b9c, v19
	v_fmac_f16_e32 v19, 0xbb9c, v60
	v_fmac_f16_e32 v7, 0xbb9c, v44
	v_add_f16_e32 v39, v39, v53
	v_fmac_f16_e32 v22, 0x3b9c, v59
	v_fmac_f16_e32 v12, 0x38b4, v24
	;; [unrolled: 1-line block ×9, first 2 shown]
	v_add_f16_e32 v10, v48, v50
	v_fmac_f16_e32 v43, 0x38b4, v46
	v_fmac_f16_e32 v45, 0xb8b4, v60
	v_add_f16_e32 v38, v54, v56
	v_fmac_f16_e32 v5, 0x38b4, v44
	v_fmac_f16_e32 v6, 0xb8b4, v44
	;; [unrolled: 1-line block ×4, first 2 shown]
	v_add_f16_e32 v11, v11, v13
	v_add_f16_e32 v13, v33, v47
	v_add_f16_e32 v8, v8, v14
	v_fmac_f16_e32 v7, 0xb8b4, v46
	v_add_f16_e32 v9, v39, v55
	v_fmac_f16_e32 v22, 0x38b4, v60
	v_fmac_f16_e32 v12, 0x34f2, v61
	;; [unrolled: 1-line block ×17, first 2 shown]
	v_pack_b32_f16 v10, v11, v13
	v_pack_b32_f16 v8, v8, v9
	;; [unrolled: 1-line block ×10, first 2 shown]
	ds_write2_b32 v28, v10, v9 offset1:10
	ds_write2_b32 v28, v11, v12 offset0:20 offset1:30
	ds_write_b32 v28, v13 offset:160
	ds_write2_b32 v27, v8, v14 offset1:10
	ds_write2_b32 v27, v15, v16 offset0:20 offset1:30
	ds_write_b32 v27, v23 offset:160
	s_waitcnt lgkmcnt(0)
	s_barrier
	buffer_gl0_inv
	ds_read2_b32 v[11:12], v17 offset1:250
	ds_read2_b32 v[15:16], v30 offset0:4 offset1:254
	ds_read2_b32 v[13:14], v31 offset1:250
	ds_read_b32 v29, v17 offset:6000
                                        ; implicit-def: $vgpr23
                                        ; implicit-def: $vgpr9
                                        ; implicit-def: $vgpr24
                                        ; implicit-def: $vgpr25
                                        ; implicit-def: $vgpr26
                                        ; implicit-def: $vgpr27
	s_and_saveexec_b32 s1, s0
	s_cbranch_execz .LBB0_19
; %bb.18:
	v_add_nc_u32_e32 v5, 0x2b0, v17
	v_add_nc_u32_e32 v7, 0xa80, v17
	;; [unrolled: 1-line block ×3, first 2 shown]
	ds_read_b32 v25, v17 offset:6700
	ds_read2_b32 v[5:6], v5 offset0:3 offset1:253
	ds_read2_b32 v[7:8], v7 offset0:3 offset1:253
	;; [unrolled: 1-line block ×3, first 2 shown]
	ds_read_u16 v22, v17 offset:2702
	s_waitcnt lgkmcnt(4)
	v_lshrrev_b32_e32 v24, 16, v25
	s_waitcnt lgkmcnt(3)
	v_lshrrev_b32_e32 v21, 16, v5
	;; [unrolled: 2-line block ×4, first 2 shown]
	v_lshrrev_b32_e32 v26, 16, v10
	v_lshrrev_b32_e32 v19, 16, v6
.LBB0_19:
	s_or_b32 exec_lo, exec_lo, s1
	v_mul_lo_u16 v18, v18, 41
	v_mov_b32_e32 v28, 6
	s_waitcnt lgkmcnt(3)
	v_lshrrev_b32_e32 v38, 16, v12
	s_waitcnt lgkmcnt(2)
	v_lshrrev_b32_e32 v39, 16, v15
	;; [unrolled: 2-line block ×3, first 2 shown]
	v_lshrrev_b16 v36, 11, v18
	s_waitcnt lgkmcnt(0)
	v_lshrrev_b32_e32 v42, 16, v29
	v_lshrrev_b32_e32 v40, 16, v13
	v_mul_lo_u16 v18, v36, 50
	v_sub_nc_u16 v37, v0, v18
	v_mul_u32_u24_sdwa v18, v37, v28 dst_sel:DWORD dst_unused:UNUSED_PAD src0_sel:BYTE_0 src1_sel:DWORD
	v_lshlrev_b32_sdwa v20, v20, v37 dst_sel:DWORD dst_unused:UNUSED_PAD src0_sel:DWORD src1_sel:BYTE_0
	v_lshrrev_b32_e32 v37, 16, v16
	v_lshlrev_b32_e32 v18, 2, v18
	s_clause 0x1
	global_load_dwordx4 v[30:33], v18, s[8:9] offset:192
	global_load_dwordx2 v[34:35], v18, s[8:9] offset:208
	v_mov_b32_e32 v18, 0x578
	s_waitcnt vmcnt(0)
	s_barrier
	buffer_gl0_inv
	v_mul_u32_u24_sdwa v36, v36, v18 dst_sel:DWORD dst_unused:UNUSED_PAD src0_sel:WORD_0 src1_sel:DWORD
	v_add3_u32 v20, 0, v36, v20
	v_mul_f16_sdwa v36, v30, v38 dst_sel:DWORD dst_unused:UNUSED_PAD src0_sel:WORD_1 src1_sel:DWORD
	v_mul_f16_sdwa v43, v30, v12 dst_sel:DWORD dst_unused:UNUSED_PAD src0_sel:WORD_1 src1_sel:DWORD
	;; [unrolled: 1-line block ×12, first 2 shown]
	v_fma_f16 v12, v30, v12, -v36
	v_fmac_f16_e32 v43, v30, v38
	v_fma_f16 v15, v31, v15, -v44
	v_fmac_f16_e32 v45, v31, v39
	;; [unrolled: 2-line block ×6, first 2 shown]
	v_add_f16_e32 v30, v12, v29
	v_add_f16_e32 v31, v43, v53
	;; [unrolled: 1-line block ×4, first 2 shown]
	v_sub_f16_e32 v12, v12, v29
	v_sub_f16_e32 v29, v43, v53
	;; [unrolled: 1-line block ×4, first 2 shown]
	v_add_f16_e32 v34, v16, v13
	v_add_f16_e32 v35, v47, v49
	v_sub_f16_e32 v13, v13, v16
	v_sub_f16_e32 v16, v49, v47
	v_add_f16_e32 v36, v32, v30
	v_add_f16_e32 v37, v33, v31
	v_sub_f16_e32 v38, v32, v30
	v_sub_f16_e32 v39, v33, v31
	;; [unrolled: 1-line block ×6, first 2 shown]
	v_add_f16_e32 v40, v13, v14
	v_add_f16_e32 v41, v16, v15
	v_sub_f16_e32 v42, v13, v14
	v_sub_f16_e32 v43, v16, v15
	;; [unrolled: 1-line block ×4, first 2 shown]
	v_add_f16_e32 v34, v34, v36
	v_add_f16_e32 v35, v35, v37
	v_sub_f16_e32 v13, v12, v13
	v_sub_f16_e32 v16, v29, v16
	v_add_f16_e32 v12, v40, v12
	v_add_f16_e32 v29, v41, v29
	v_mul_f16_e32 v30, 0x3a52, v30
	v_mul_f16_e32 v31, 0x3a52, v31
	;; [unrolled: 1-line block ×8, first 2 shown]
	v_add_f16_e32 v44, v34, v11
	v_add_f16_sdwa v11, v35, v11 dst_sel:DWORD dst_unused:UNUSED_PAD src0_sel:DWORD src1_sel:WORD_1
	v_fmamk_f16 v32, v32, 0x2b26, v30
	v_fmamk_f16 v33, v33, 0x2b26, v31
	v_fma_f16 v36, v38, 0x39e0, -v36
	v_fma_f16 v37, v39, 0x39e0, -v37
	;; [unrolled: 1-line block ×4, first 2 shown]
	v_fmamk_f16 v38, v13, 0x3574, v40
	v_fmamk_f16 v39, v16, 0x3574, v41
	v_fma_f16 v14, v14, 0x3b00, -v40
	v_fma_f16 v15, v15, 0x3b00, -v41
	;; [unrolled: 1-line block ×4, first 2 shown]
	v_fmamk_f16 v34, v34, 0xbcab, v44
	v_fmamk_f16 v35, v35, 0xbcab, v11
	v_fmac_f16_e32 v38, 0x370e, v12
	v_fmac_f16_e32 v39, 0x370e, v29
	;; [unrolled: 1-line block ×6, first 2 shown]
	v_add_f16_e32 v12, v32, v34
	v_add_f16_e32 v29, v33, v35
	;; [unrolled: 1-line block ×7, first 2 shown]
	v_sub_f16_e32 v35, v29, v38
	v_add_f16_e32 v36, v16, v30
	v_sub_f16_e32 v37, v31, v13
	v_sub_f16_e32 v40, v32, v15
	v_add_f16_e32 v41, v14, v33
	v_add_f16_e32 v15, v15, v32
	v_sub_f16_e32 v14, v33, v14
	v_sub_f16_e32 v16, v30, v16
	v_add_f16_e32 v13, v13, v31
	v_sub_f16_e32 v12, v12, v39
	v_add_f16_e32 v29, v38, v29
	v_pack_b32_f16 v11, v44, v11
	v_pack_b32_f16 v30, v34, v35
	;; [unrolled: 1-line block ×7, first 2 shown]
	ds_write2_b32 v20, v11, v30 offset1:50
	ds_write2_b32 v20, v31, v32 offset0:100 offset1:150
	ds_write2_b32 v20, v14, v13 offset0:200 offset1:250
	ds_write_b32 v20, v12 offset:1200
	s_and_saveexec_b32 s1, s0
	s_cbranch_execz .LBB0_21
; %bb.20:
	v_lshrrev_b16 v11, 1, v1
	v_mov_b32_e32 v12, 0x147b
	v_mov_b32_e32 v29, 2
	v_mul_u32_u24_sdwa v11, v11, v12 dst_sel:DWORD dst_unused:UNUSED_PAD src0_sel:WORD_0 src1_sel:DWORD
	v_lshrrev_b32_e32 v11, 17, v11
	v_mul_lo_u16 v11, v11, 50
	v_sub_nc_u16 v20, v1, v11
	v_mul_u32_u24_sdwa v11, v20, v28 dst_sel:DWORD dst_unused:UNUSED_PAD src0_sel:WORD_0 src1_sel:DWORD
	v_and_b32_e32 v28, 0xff, v1
	v_lshlrev_b32_sdwa v20, v29, v20 dst_sel:DWORD dst_unused:UNUSED_PAD src0_sel:DWORD src1_sel:WORD_0
	v_lshlrev_b32_e32 v15, 2, v11
	v_mul_lo_u16 v28, v28, 41
	s_clause 0x1
	global_load_dwordx4 v[11:14], v15, s[8:9] offset:192
	global_load_dwordx2 v[15:16], v15, s[8:9] offset:208
	v_lshrrev_b16 v28, 11, v28
	v_mul_u32_u24_sdwa v18, v28, v18 dst_sel:DWORD dst_unused:UNUSED_PAD src0_sel:WORD_0 src1_sel:DWORD
	v_add3_u32 v18, 0, v18, v20
	s_waitcnt vmcnt(1)
	v_mul_f16_sdwa v20, v19, v11 dst_sel:DWORD dst_unused:UNUSED_PAD src0_sel:DWORD src1_sel:WORD_1
	s_waitcnt vmcnt(0)
	v_mul_f16_sdwa v28, v24, v16 dst_sel:DWORD dst_unused:UNUSED_PAD src0_sel:DWORD src1_sel:WORD_1
	v_mul_f16_sdwa v31, v22, v12 dst_sel:DWORD dst_unused:UNUSED_PAD src0_sel:DWORD src1_sel:WORD_1
	;; [unrolled: 1-line block ×11, first 2 shown]
	v_fma_f16 v6, v6, v11, -v20
	v_fma_f16 v20, v25, v16, -v28
	;; [unrolled: 1-line block ×4, first 2 shown]
	v_fmac_f16_e32 v33, v24, v16
	v_fmac_f16_e32 v34, v19, v11
	;; [unrolled: 1-line block ×4, first 2 shown]
	v_fma_f16 v9, v9, v14, -v29
	v_fma_f16 v8, v8, v13, -v30
	v_fmac_f16_e32 v35, v27, v13
	v_fmac_f16_e32 v36, v23, v14
	v_sub_f16_e32 v11, v6, v20
	v_sub_f16_e32 v13, v7, v10
	v_add_f16_e32 v14, v34, v33
	v_add_f16_e32 v16, v38, v37
	;; [unrolled: 1-line block ×4, first 2 shown]
	v_sub_f16_e32 v12, v9, v8
	v_add_f16_e32 v15, v35, v36
	v_add_f16_e32 v8, v8, v9
	v_sub_f16_e32 v9, v34, v33
	v_sub_f16_e32 v10, v36, v35
	;; [unrolled: 1-line block ×3, first 2 shown]
	v_add_f16_e32 v25, v16, v14
	v_add_f16_e32 v28, v7, v6
	v_sub_f16_e32 v20, v11, v12
	v_sub_f16_e32 v22, v12, v13
	v_add_f16_e32 v12, v12, v13
	v_sub_f16_e32 v23, v14, v15
	v_sub_f16_e32 v24, v15, v16
	;; [unrolled: 1-line block ×6, first 2 shown]
	v_add_f16_e32 v10, v10, v19
	v_sub_f16_e32 v13, v13, v11
	v_sub_f16_e32 v6, v7, v6
	;; [unrolled: 1-line block ×3, first 2 shown]
	v_add_f16_e32 v15, v15, v25
	v_add_f16_e32 v8, v8, v28
	v_sub_f16_e32 v14, v16, v14
	v_mul_f16_e32 v16, 0xb846, v22
	v_add_f16_e32 v11, v12, v11
	v_mul_f16_e32 v12, 0x3a52, v23
	v_mul_f16_e32 v22, 0x3a52, v26
	;; [unrolled: 1-line block ×3, first 2 shown]
	v_add_f16_e32 v9, v10, v9
	v_mul_f16_e32 v10, 0x3b00, v13
	v_mul_f16_e32 v26, 0x3b00, v7
	v_add_f16_e32 v21, v21, v15
	v_add_f16_e32 v5, v5, v8
	v_mul_f16_e32 v19, 0x2b26, v24
	v_mul_f16_e32 v23, 0x2b26, v27
	v_fmamk_f16 v28, v20, 0x3574, v16
	v_fmamk_f16 v24, v24, 0x2b26, v12
	;; [unrolled: 1-line block ×4, first 2 shown]
	v_fma_f16 v10, v20, 0xb574, -v10
	v_fma_f16 v20, v6, 0xb9e0, -v22
	;; [unrolled: 1-line block ×5, first 2 shown]
	v_fmamk_f16 v15, v15, 0xbcab, v21
	v_fmamk_f16 v8, v8, 0xbcab, v5
	v_fma_f16 v12, v14, 0xb9e0, -v12
	v_fma_f16 v14, v14, 0x39e0, -v19
	;; [unrolled: 1-line block ×3, first 2 shown]
	v_fmac_f16_e32 v28, 0x370e, v11
	v_fmac_f16_e32 v30, 0x370e, v9
	v_fmac_f16_e32 v10, 0x370e, v11
	v_fmac_f16_e32 v22, 0x370e, v9
	v_fmac_f16_e32 v13, 0x370e, v11
	v_fmac_f16_e32 v7, 0x370e, v9
	v_add_f16_e32 v9, v24, v15
	v_add_f16_e32 v11, v27, v8
	;; [unrolled: 1-line block ×7, first 2 shown]
	v_sub_f16_e32 v15, v11, v30
	v_sub_f16_e32 v9, v9, v28
	v_add_f16_e32 v11, v30, v11
	v_add_f16_e32 v19, v10, v12
	v_sub_f16_e32 v20, v14, v13
	v_add_f16_e32 v13, v13, v14
	v_sub_f16_e32 v10, v12, v10
	;; [unrolled: 2-line block ×4, first 2 shown]
	v_pack_b32_f16 v5, v5, v21
	v_pack_b32_f16 v9, v11, v9
	v_pack_b32_f16 v10, v12, v10
	v_pack_b32_f16 v11, v14, v13
	v_pack_b32_f16 v6, v6, v20
	v_pack_b32_f16 v7, v7, v19
	v_pack_b32_f16 v8, v15, v8
	ds_write2_b32 v18, v5, v9 offset1:50
	ds_write2_b32 v18, v10, v11 offset0:100 offset1:150
	ds_write2_b32 v18, v6, v7 offset0:200 offset1:250
	ds_write_b32 v18, v8 offset:1200
.LBB0_21:
	s_or_b32 exec_lo, exec_lo, s1
	v_mov_b32_e32 v5, 0
	s_waitcnt lgkmcnt(0)
	s_barrier
	buffer_gl0_inv
	v_add_nc_u32_e32 v16, 0x1500, v17
	v_lshlrev_b64 v[6:7], 2, v[4:5]
	v_lshlrev_b32_e32 v4, 2, v1
	v_add_nc_u32_e32 v1, 0xa00, v17
	v_add_nc_u32_e32 v26, 0x500, v17
	ds_read2_b32 v[14:15], v17 offset1:175
	v_lshlrev_b64 v[10:11], 2, v[4:5]
	v_add_co_u32 v6, s0, s8, v6
	v_add_co_ci_u32_e64 v7, s0, s9, v7, s0
	v_add_nc_u32_e32 v4, 0x1000, v17
	v_add_co_u32 v10, s0, s8, v10
	global_load_dwordx4 v[6:9], v[6:7], off offset:1392
	v_add_co_ci_u32_e64 v11, s0, s9, v11, s0
	global_load_dwordx4 v[10:13], v[10:11], off offset:1392
	ds_read2_b32 v[18:19], v1 offset0:60 offset1:235
	ds_read2_b32 v[20:21], v4 offset0:26 offset1:201
	;; [unrolled: 1-line block ×4, first 2 shown]
	s_waitcnt vmcnt(0) lgkmcnt(0)
	s_barrier
	v_lshrrev_b32_e32 v27, 16, v14
	v_lshrrev_b32_e32 v28, 16, v15
	buffer_gl0_inv
	v_lshrrev_b32_e32 v33, 16, v18
	v_lshrrev_b32_e32 v34, 16, v20
	;; [unrolled: 1-line block ×8, first 2 shown]
	v_mul_f16_sdwa v37, v6, v32 dst_sel:DWORD dst_unused:UNUSED_PAD src0_sel:WORD_1 src1_sel:DWORD
	v_mul_f16_sdwa v38, v6, v24 dst_sel:DWORD dst_unused:UNUSED_PAD src0_sel:WORD_1 src1_sel:DWORD
	;; [unrolled: 1-line block ×8, first 2 shown]
	v_fma_f16 v24, v6, v24, -v37
	v_fmac_f16_e32 v38, v6, v32
	v_fma_f16 v6, v7, v18, -v39
	v_fmac_f16_e32 v40, v7, v33
	;; [unrolled: 2-line block ×4, first 2 shown]
	v_mul_f16_sdwa v9, v10, v36 dst_sel:DWORD dst_unused:UNUSED_PAD src0_sel:WORD_1 src1_sel:DWORD
	v_mul_f16_sdwa v18, v10, v25 dst_sel:DWORD dst_unused:UNUSED_PAD src0_sel:WORD_1 src1_sel:DWORD
	v_mul_f16_sdwa v20, v29, v11 dst_sel:DWORD dst_unused:UNUSED_PAD src0_sel:DWORD src1_sel:WORD_1
	v_mul_f16_sdwa v22, v19, v11 dst_sel:DWORD dst_unused:UNUSED_PAD src0_sel:DWORD src1_sel:WORD_1
	v_mul_f16_sdwa v32, v30, v12 dst_sel:DWORD dst_unused:UNUSED_PAD src0_sel:DWORD src1_sel:WORD_1
	v_mul_f16_sdwa v33, v21, v12 dst_sel:DWORD dst_unused:UNUSED_PAD src0_sel:DWORD src1_sel:WORD_1
	v_mul_f16_sdwa v34, v31, v13 dst_sel:DWORD dst_unused:UNUSED_PAD src0_sel:DWORD src1_sel:WORD_1
	v_mul_f16_sdwa v35, v23, v13 dst_sel:DWORD dst_unused:UNUSED_PAD src0_sel:DWORD src1_sel:WORD_1
	v_fma_f16 v9, v10, v25, -v9
	v_fmac_f16_e32 v18, v10, v36
	v_fma_f16 v10, v19, v11, -v20
	v_fmac_f16_e32 v22, v29, v11
	v_fma_f16 v11, v21, v12, -v32
	v_fmac_f16_e32 v33, v30, v12
	v_fma_f16 v12, v23, v13, -v34
	v_fmac_f16_e32 v35, v31, v13
	v_add_f16_e32 v13, v14, v24
	v_add_f16_e32 v19, v6, v7
	v_sub_f16_e32 v23, v24, v6
	v_sub_f16_e32 v25, v8, v7
	v_add_f16_e32 v29, v24, v8
	v_sub_f16_e32 v30, v6, v24
	v_sub_f16_e32 v31, v7, v8
	v_add_f16_e32 v32, v27, v38
	v_add_f16_e32 v34, v40, v42
	v_sub_f16_e32 v37, v38, v40
	v_sub_f16_e32 v39, v44, v42
	v_add_f16_e32 v41, v38, v44
	v_sub_f16_e32 v20, v38, v44
	v_sub_f16_e32 v21, v40, v42
	;; [unrolled: 1-line block ×5, first 2 shown]
	v_add_f16_e32 v6, v13, v6
	v_fma_f16 v13, -0.5, v19, v14
	v_add_f16_e32 v19, v23, v25
	v_fma_f16 v14, -0.5, v29, v14
	v_add_f16_e32 v23, v30, v31
	v_add_f16_e32 v25, v32, v40
	v_fma_f16 v29, -0.5, v34, v27
	v_add_f16_e32 v30, v37, v39
	v_add_f16_e32 v32, v15, v9
	;; [unrolled: 1-line block ×3, first 2 shown]
	v_sub_f16_e32 v39, v9, v10
	v_sub_f16_e32 v40, v12, v11
	v_add_f16_e32 v46, v28, v18
	v_add_f16_e32 v47, v22, v33
	v_fmac_f16_e32 v27, -0.5, v41
	v_add_f16_e32 v41, v9, v12
	v_add_f16_e32 v51, v18, v35
	v_sub_f16_e32 v24, v24, v8
	v_add_f16_e32 v31, v38, v43
	v_sub_f16_e32 v37, v18, v35
	v_sub_f16_e32 v38, v22, v33
	v_sub_f16_e32 v43, v10, v9
	v_sub_f16_e32 v9, v9, v12
	v_sub_f16_e32 v48, v10, v11
	v_sub_f16_e32 v49, v18, v22
	v_sub_f16_e32 v18, v22, v18
	v_add_f16_e32 v6, v6, v7
	v_fmamk_f16 v7, v20, 0x3b9c, v13
	v_fmac_f16_e32 v13, 0xbb9c, v20
	v_add_f16_e32 v10, v32, v10
	v_fma_f16 v32, -0.5, v34, v15
	v_add_f16_e32 v34, v39, v40
	v_add_f16_e32 v22, v46, v22
	v_fma_f16 v40, -0.5, v47, v28
	v_fmamk_f16 v53, v21, 0xbb9c, v14
	v_fmac_f16_e32 v14, 0x3b9c, v21
	v_fmamk_f16 v54, v36, 0x3b9c, v27
	v_fmac_f16_e32 v27, 0xbb9c, v36
	v_fmac_f16_e32 v15, -0.5, v41
	v_fmac_f16_e32 v28, -0.5, v51
	v_sub_f16_e32 v45, v11, v12
	v_sub_f16_e32 v50, v35, v33
	v_add_f16_e32 v25, v25, v42
	v_fmamk_f16 v42, v24, 0xbb9c, v29
	v_fmac_f16_e32 v7, 0x38b4, v21
	v_fmac_f16_e32 v13, 0xb8b4, v21
	v_add_f16_e32 v10, v10, v11
	v_fmamk_f16 v11, v37, 0x3b9c, v32
	v_add_f16_e32 v21, v22, v33
	v_fmamk_f16 v22, v9, 0xbb9c, v40
	v_sub_f16_e32 v52, v33, v35
	v_fmac_f16_e32 v29, 0x3b9c, v24
	v_fmac_f16_e32 v53, 0x38b4, v20
	;; [unrolled: 1-line block ×5, first 2 shown]
	v_fmamk_f16 v20, v38, 0xbb9c, v15
	v_fmamk_f16 v24, v48, 0x3b9c, v28
	v_fmac_f16_e32 v15, 0x3b9c, v38
	v_fmac_f16_e32 v28, 0xbb9c, v48
	;; [unrolled: 1-line block ×4, first 2 shown]
	v_add_f16_e32 v41, v49, v50
	v_fmac_f16_e32 v42, 0xb8b4, v36
	v_fmac_f16_e32 v11, 0x38b4, v38
	;; [unrolled: 1-line block ×3, first 2 shown]
	v_add_f16_e32 v39, v43, v45
	v_add_f16_e32 v18, v18, v52
	v_fmac_f16_e32 v20, 0x38b4, v37
	v_fmac_f16_e32 v24, 0xb8b4, v9
	;; [unrolled: 1-line block ×7, first 2 shown]
	v_add_f16_e32 v6, v6, v8
	v_add_f16_e32 v8, v25, v44
	;; [unrolled: 1-line block ×4, first 2 shown]
	v_fmac_f16_e32 v7, 0x34f2, v19
	v_fmac_f16_e32 v42, 0x34f2, v30
	;; [unrolled: 1-line block ×16, first 2 shown]
	v_pack_b32_f16 v6, v6, v8
	v_pack_b32_f16 v10, v10, v12
	;; [unrolled: 1-line block ×10, first 2 shown]
	ds_write2_b32 v17, v6, v10 offset1:175
	ds_write2_b32 v26, v7, v11 offset0:30 offset1:205
	ds_write2_b32 v1, v8, v12 offset0:60 offset1:235
	;; [unrolled: 1-line block ×4, first 2 shown]
	s_waitcnt lgkmcnt(0)
	s_barrier
	buffer_gl0_inv
	s_and_saveexec_b32 s0, vcc_lo
	s_cbranch_execz .LBB0_23
; %bb.22:
	v_lshl_add_u32 v16, v0, 2, 0
	v_mov_b32_e32 v1, v5
	v_add_nc_u32_e32 v4, 0xaf, v0
	v_add_co_u32 v18, vcc_lo, s2, v2
	ds_read2_b32 v[6:7], v16 offset1:175
	v_lshlrev_b64 v[8:9], 2, v[0:1]
	v_lshlrev_b64 v[10:11], 2, v[4:5]
	v_add_co_ci_u32_e32 v19, vcc_lo, s3, v3, vcc_lo
	v_add_nc_u32_e32 v4, 0x15e, v0
	v_add_nc_u32_e32 v3, 0x500, v16
	v_add_co_u32 v8, vcc_lo, v18, v8
	v_add_co_ci_u32_e32 v9, vcc_lo, v19, v9, vcc_lo
	v_add_co_u32 v10, vcc_lo, v18, v10
	v_add_co_ci_u32_e32 v11, vcc_lo, v19, v11, vcc_lo
	v_add_nc_u32_e32 v14, 0xa00, v16
	v_lshlrev_b64 v[1:2], 2, v[4:5]
	v_add_nc_u32_e32 v4, 0x20d, v0
	ds_read2_b32 v[12:13], v3 offset0:30 offset1:205
	v_add_nc_u32_e32 v3, 0x1000, v16
	s_waitcnt lgkmcnt(1)
	global_store_dword v[8:9], v6, off
	global_store_dword v[10:11], v7, off
	ds_read2_b32 v[8:9], v14 offset0:60 offset1:235
	v_lshlrev_b64 v[6:7], 2, v[4:5]
	v_add_nc_u32_e32 v4, 0x2bc, v0
	v_add_co_u32 v1, vcc_lo, v18, v1
	v_add_co_ci_u32_e32 v2, vcc_lo, v19, v2, vcc_lo
	v_lshlrev_b64 v[10:11], 2, v[4:5]
	v_add_nc_u32_e32 v4, 0x36b, v0
	v_add_co_u32 v6, vcc_lo, v18, v6
	v_add_co_ci_u32_e32 v7, vcc_lo, v19, v7, vcc_lo
	v_add_co_u32 v10, vcc_lo, v18, v10
	v_lshlrev_b64 v[14:15], 2, v[4:5]
	v_add_nc_u32_e32 v4, 0x41a, v0
	v_add_co_ci_u32_e32 v11, vcc_lo, v19, v11, vcc_lo
	s_waitcnt lgkmcnt(1)
	global_store_dword v[1:2], v12, off
	global_store_dword v[6:7], v13, off
	s_waitcnt lgkmcnt(0)
	global_store_dword v[10:11], v8, off
	v_lshlrev_b64 v[1:2], 2, v[4:5]
	v_add_nc_u32_e32 v4, 0x4c9, v0
	v_add_nc_u32_e32 v8, 0x1500, v16
	v_add_co_u32 v6, vcc_lo, v18, v14
	ds_read2_b32 v[10:11], v3 offset0:26 offset1:201
	v_lshlrev_b64 v[12:13], 2, v[4:5]
	v_add_nc_u32_e32 v4, 0x578, v0
	v_add_co_ci_u32_e32 v7, vcc_lo, v19, v15, vcc_lo
	ds_read2_b32 v[14:15], v8 offset0:56 offset1:231
	v_add_co_u32 v1, vcc_lo, v18, v1
	v_lshlrev_b64 v[16:17], 2, v[4:5]
	v_add_nc_u32_e32 v4, 0x627, v0
	v_add_co_ci_u32_e32 v2, vcc_lo, v19, v2, vcc_lo
	v_add_co_u32 v12, vcc_lo, v18, v12
	v_lshlrev_b64 v[3:4], 2, v[4:5]
	v_add_co_ci_u32_e32 v13, vcc_lo, v19, v13, vcc_lo
	v_add_co_u32 v16, vcc_lo, v18, v16
	v_add_co_ci_u32_e32 v17, vcc_lo, v19, v17, vcc_lo
	v_add_co_u32 v3, vcc_lo, v18, v3
	v_add_co_ci_u32_e32 v4, vcc_lo, v19, v4, vcc_lo
	global_store_dword v[6:7], v9, off
	s_waitcnt lgkmcnt(1)
	global_store_dword v[1:2], v10, off
	global_store_dword v[12:13], v11, off
	s_waitcnt lgkmcnt(0)
	global_store_dword v[16:17], v14, off
	global_store_dword v[3:4], v15, off
.LBB0_23:
	s_endpgm
	.section	.rodata,"a",@progbits
	.p2align	6, 0x0
	.amdhsa_kernel fft_rtc_fwd_len1750_factors_2_5_5_7_5_wgs_175_tpt_175_halfLds_half_ip_CI_unitstride_sbrr_C2R_dirReg
		.amdhsa_group_segment_fixed_size 0
		.amdhsa_private_segment_fixed_size 0
		.amdhsa_kernarg_size 88
		.amdhsa_user_sgpr_count 6
		.amdhsa_user_sgpr_private_segment_buffer 1
		.amdhsa_user_sgpr_dispatch_ptr 0
		.amdhsa_user_sgpr_queue_ptr 0
		.amdhsa_user_sgpr_kernarg_segment_ptr 1
		.amdhsa_user_sgpr_dispatch_id 0
		.amdhsa_user_sgpr_flat_scratch_init 0
		.amdhsa_user_sgpr_private_segment_size 0
		.amdhsa_wavefront_size32 1
		.amdhsa_uses_dynamic_stack 0
		.amdhsa_system_sgpr_private_segment_wavefront_offset 0
		.amdhsa_system_sgpr_workgroup_id_x 1
		.amdhsa_system_sgpr_workgroup_id_y 0
		.amdhsa_system_sgpr_workgroup_id_z 0
		.amdhsa_system_sgpr_workgroup_info 0
		.amdhsa_system_vgpr_workitem_id 0
		.amdhsa_next_free_vgpr 62
		.amdhsa_next_free_sgpr 21
		.amdhsa_reserve_vcc 1
		.amdhsa_reserve_flat_scratch 0
		.amdhsa_float_round_mode_32 0
		.amdhsa_float_round_mode_16_64 0
		.amdhsa_float_denorm_mode_32 3
		.amdhsa_float_denorm_mode_16_64 3
		.amdhsa_dx10_clamp 1
		.amdhsa_ieee_mode 1
		.amdhsa_fp16_overflow 0
		.amdhsa_workgroup_processor_mode 1
		.amdhsa_memory_ordered 1
		.amdhsa_forward_progress 0
		.amdhsa_shared_vgpr_count 0
		.amdhsa_exception_fp_ieee_invalid_op 0
		.amdhsa_exception_fp_denorm_src 0
		.amdhsa_exception_fp_ieee_div_zero 0
		.amdhsa_exception_fp_ieee_overflow 0
		.amdhsa_exception_fp_ieee_underflow 0
		.amdhsa_exception_fp_ieee_inexact 0
		.amdhsa_exception_int_div_zero 0
	.end_amdhsa_kernel
	.text
.Lfunc_end0:
	.size	fft_rtc_fwd_len1750_factors_2_5_5_7_5_wgs_175_tpt_175_halfLds_half_ip_CI_unitstride_sbrr_C2R_dirReg, .Lfunc_end0-fft_rtc_fwd_len1750_factors_2_5_5_7_5_wgs_175_tpt_175_halfLds_half_ip_CI_unitstride_sbrr_C2R_dirReg
                                        ; -- End function
	.section	.AMDGPU.csdata,"",@progbits
; Kernel info:
; codeLenInByte = 8896
; NumSgprs: 23
; NumVgprs: 62
; ScratchSize: 0
; MemoryBound: 0
; FloatMode: 240
; IeeeMode: 1
; LDSByteSize: 0 bytes/workgroup (compile time only)
; SGPRBlocks: 2
; VGPRBlocks: 7
; NumSGPRsForWavesPerEU: 23
; NumVGPRsForWavesPerEU: 62
; Occupancy: 15
; WaveLimiterHint : 1
; COMPUTE_PGM_RSRC2:SCRATCH_EN: 0
; COMPUTE_PGM_RSRC2:USER_SGPR: 6
; COMPUTE_PGM_RSRC2:TRAP_HANDLER: 0
; COMPUTE_PGM_RSRC2:TGID_X_EN: 1
; COMPUTE_PGM_RSRC2:TGID_Y_EN: 0
; COMPUTE_PGM_RSRC2:TGID_Z_EN: 0
; COMPUTE_PGM_RSRC2:TIDIG_COMP_CNT: 0
	.text
	.p2alignl 6, 3214868480
	.fill 48, 4, 3214868480
	.type	__hip_cuid_8ec79b0d90c2612d,@object ; @__hip_cuid_8ec79b0d90c2612d
	.section	.bss,"aw",@nobits
	.globl	__hip_cuid_8ec79b0d90c2612d
__hip_cuid_8ec79b0d90c2612d:
	.byte	0                               ; 0x0
	.size	__hip_cuid_8ec79b0d90c2612d, 1

	.ident	"AMD clang version 19.0.0git (https://github.com/RadeonOpenCompute/llvm-project roc-6.4.0 25133 c7fe45cf4b819c5991fe208aaa96edf142730f1d)"
	.section	".note.GNU-stack","",@progbits
	.addrsig
	.addrsig_sym __hip_cuid_8ec79b0d90c2612d
	.amdgpu_metadata
---
amdhsa.kernels:
  - .args:
      - .actual_access:  read_only
        .address_space:  global
        .offset:         0
        .size:           8
        .value_kind:     global_buffer
      - .offset:         8
        .size:           8
        .value_kind:     by_value
      - .actual_access:  read_only
        .address_space:  global
        .offset:         16
        .size:           8
        .value_kind:     global_buffer
      - .actual_access:  read_only
        .address_space:  global
        .offset:         24
        .size:           8
        .value_kind:     global_buffer
      - .offset:         32
        .size:           8
        .value_kind:     by_value
      - .actual_access:  read_only
        .address_space:  global
        .offset:         40
        .size:           8
        .value_kind:     global_buffer
      - .actual_access:  read_only
        .address_space:  global
        .offset:         48
        .size:           8
        .value_kind:     global_buffer
      - .offset:         56
        .size:           4
        .value_kind:     by_value
      - .actual_access:  read_only
        .address_space:  global
        .offset:         64
        .size:           8
        .value_kind:     global_buffer
      - .actual_access:  read_only
        .address_space:  global
        .offset:         72
        .size:           8
        .value_kind:     global_buffer
      - .address_space:  global
        .offset:         80
        .size:           8
        .value_kind:     global_buffer
    .group_segment_fixed_size: 0
    .kernarg_segment_align: 8
    .kernarg_segment_size: 88
    .language:       OpenCL C
    .language_version:
      - 2
      - 0
    .max_flat_workgroup_size: 175
    .name:           fft_rtc_fwd_len1750_factors_2_5_5_7_5_wgs_175_tpt_175_halfLds_half_ip_CI_unitstride_sbrr_C2R_dirReg
    .private_segment_fixed_size: 0
    .sgpr_count:     23
    .sgpr_spill_count: 0
    .symbol:         fft_rtc_fwd_len1750_factors_2_5_5_7_5_wgs_175_tpt_175_halfLds_half_ip_CI_unitstride_sbrr_C2R_dirReg.kd
    .uniform_work_group_size: 1
    .uses_dynamic_stack: false
    .vgpr_count:     62
    .vgpr_spill_count: 0
    .wavefront_size: 32
    .workgroup_processor_mode: 1
amdhsa.target:   amdgcn-amd-amdhsa--gfx1030
amdhsa.version:
  - 1
  - 2
...

	.end_amdgpu_metadata
